;; amdgpu-corpus repo=ROCm/rocFFT kind=compiled arch=gfx1030 opt=O3
	.text
	.amdgcn_target "amdgcn-amd-amdhsa--gfx1030"
	.amdhsa_code_object_version 6
	.protected	fft_rtc_fwd_len840_factors_2_2_2_3_5_7_wgs_56_tpt_56_halfLds_dp_op_CI_CI_unitstride_sbrr_dirReg ; -- Begin function fft_rtc_fwd_len840_factors_2_2_2_3_5_7_wgs_56_tpt_56_halfLds_dp_op_CI_CI_unitstride_sbrr_dirReg
	.globl	fft_rtc_fwd_len840_factors_2_2_2_3_5_7_wgs_56_tpt_56_halfLds_dp_op_CI_CI_unitstride_sbrr_dirReg
	.p2align	8
	.type	fft_rtc_fwd_len840_factors_2_2_2_3_5_7_wgs_56_tpt_56_halfLds_dp_op_CI_CI_unitstride_sbrr_dirReg,@function
fft_rtc_fwd_len840_factors_2_2_2_3_5_7_wgs_56_tpt_56_halfLds_dp_op_CI_CI_unitstride_sbrr_dirReg: ; @fft_rtc_fwd_len840_factors_2_2_2_3_5_7_wgs_56_tpt_56_halfLds_dp_op_CI_CI_unitstride_sbrr_dirReg
; %bb.0:
	s_clause 0x2
	s_load_dwordx4 s[8:11], s[4:5], 0x0
	s_load_dwordx4 s[12:15], s[4:5], 0x58
	;; [unrolled: 1-line block ×3, first 2 shown]
	v_mul_u32_u24_e32 v2, 0x493, v0
	v_mov_b32_e32 v1, 0
	v_mov_b32_e32 v4, 0
	;; [unrolled: 1-line block ×3, first 2 shown]
	v_add_nc_u32_sdwa v6, s6, v2 dst_sel:DWORD dst_unused:UNUSED_PAD src0_sel:DWORD src1_sel:WORD_1
	v_mov_b32_e32 v7, v1
	s_waitcnt lgkmcnt(0)
	v_cmp_lt_u64_e64 s0, s[10:11], 2
	s_and_b32 vcc_lo, exec_lo, s0
	s_cbranch_vccnz .LBB0_8
; %bb.1:
	s_load_dwordx2 s[0:1], s[4:5], 0x10
	v_mov_b32_e32 v4, 0
	v_mov_b32_e32 v5, 0
	s_add_u32 s2, s18, 8
	s_addc_u32 s3, s19, 0
	s_add_u32 s6, s16, 8
	s_addc_u32 s7, s17, 0
	v_mov_b32_e32 v129, v5
	v_mov_b32_e32 v128, v4
	s_mov_b64 s[22:23], 1
	s_waitcnt lgkmcnt(0)
	s_add_u32 s20, s0, 8
	s_addc_u32 s21, s1, 0
.LBB0_2:                                ; =>This Inner Loop Header: Depth=1
	s_load_dwordx2 s[24:25], s[20:21], 0x0
                                        ; implicit-def: $vgpr130_vgpr131
	s_mov_b32 s0, exec_lo
	s_waitcnt lgkmcnt(0)
	v_or_b32_e32 v2, s25, v7
	v_cmpx_ne_u64_e32 0, v[1:2]
	s_xor_b32 s1, exec_lo, s0
	s_cbranch_execz .LBB0_4
; %bb.3:                                ;   in Loop: Header=BB0_2 Depth=1
	v_cvt_f32_u32_e32 v2, s24
	v_cvt_f32_u32_e32 v3, s25
	s_sub_u32 s0, 0, s24
	s_subb_u32 s26, 0, s25
	v_fmac_f32_e32 v2, 0x4f800000, v3
	v_rcp_f32_e32 v2, v2
	v_mul_f32_e32 v2, 0x5f7ffffc, v2
	v_mul_f32_e32 v3, 0x2f800000, v2
	v_trunc_f32_e32 v3, v3
	v_fmac_f32_e32 v2, 0xcf800000, v3
	v_cvt_u32_f32_e32 v3, v3
	v_cvt_u32_f32_e32 v2, v2
	v_mul_lo_u32 v8, s0, v3
	v_mul_hi_u32 v9, s0, v2
	v_mul_lo_u32 v10, s26, v2
	v_add_nc_u32_e32 v8, v9, v8
	v_mul_lo_u32 v9, s0, v2
	v_add_nc_u32_e32 v8, v8, v10
	v_mul_hi_u32 v10, v2, v9
	v_mul_lo_u32 v11, v2, v8
	v_mul_hi_u32 v12, v2, v8
	v_mul_hi_u32 v13, v3, v9
	v_mul_lo_u32 v9, v3, v9
	v_mul_hi_u32 v14, v3, v8
	v_mul_lo_u32 v8, v3, v8
	v_add_co_u32 v10, vcc_lo, v10, v11
	v_add_co_ci_u32_e32 v11, vcc_lo, 0, v12, vcc_lo
	v_add_co_u32 v9, vcc_lo, v10, v9
	v_add_co_ci_u32_e32 v9, vcc_lo, v11, v13, vcc_lo
	v_add_co_ci_u32_e32 v10, vcc_lo, 0, v14, vcc_lo
	v_add_co_u32 v8, vcc_lo, v9, v8
	v_add_co_ci_u32_e32 v9, vcc_lo, 0, v10, vcc_lo
	v_add_co_u32 v2, vcc_lo, v2, v8
	v_add_co_ci_u32_e32 v3, vcc_lo, v3, v9, vcc_lo
	v_mul_hi_u32 v8, s0, v2
	v_mul_lo_u32 v10, s26, v2
	v_mul_lo_u32 v9, s0, v3
	v_add_nc_u32_e32 v8, v8, v9
	v_mul_lo_u32 v9, s0, v2
	v_add_nc_u32_e32 v8, v8, v10
	v_mul_hi_u32 v10, v2, v9
	v_mul_lo_u32 v11, v2, v8
	v_mul_hi_u32 v12, v2, v8
	v_mul_hi_u32 v13, v3, v9
	v_mul_lo_u32 v9, v3, v9
	v_mul_hi_u32 v14, v3, v8
	v_mul_lo_u32 v8, v3, v8
	v_add_co_u32 v10, vcc_lo, v10, v11
	v_add_co_ci_u32_e32 v11, vcc_lo, 0, v12, vcc_lo
	v_add_co_u32 v9, vcc_lo, v10, v9
	v_add_co_ci_u32_e32 v9, vcc_lo, v11, v13, vcc_lo
	v_add_co_ci_u32_e32 v10, vcc_lo, 0, v14, vcc_lo
	v_add_co_u32 v8, vcc_lo, v9, v8
	v_add_co_ci_u32_e32 v9, vcc_lo, 0, v10, vcc_lo
	v_add_co_u32 v8, vcc_lo, v2, v8
	v_add_co_ci_u32_e32 v10, vcc_lo, v3, v9, vcc_lo
	v_mul_hi_u32 v12, v6, v8
	v_mad_u64_u32 v[8:9], null, v7, v8, 0
	v_mad_u64_u32 v[2:3], null, v6, v10, 0
	;; [unrolled: 1-line block ×3, first 2 shown]
	v_add_co_u32 v2, vcc_lo, v12, v2
	v_add_co_ci_u32_e32 v3, vcc_lo, 0, v3, vcc_lo
	v_add_co_u32 v2, vcc_lo, v2, v8
	v_add_co_ci_u32_e32 v2, vcc_lo, v3, v9, vcc_lo
	v_add_co_ci_u32_e32 v3, vcc_lo, 0, v11, vcc_lo
	v_add_co_u32 v8, vcc_lo, v2, v10
	v_add_co_ci_u32_e32 v9, vcc_lo, 0, v3, vcc_lo
	v_mul_lo_u32 v10, s25, v8
	v_mad_u64_u32 v[2:3], null, s24, v8, 0
	v_mul_lo_u32 v11, s24, v9
	v_sub_co_u32 v2, vcc_lo, v6, v2
	v_add3_u32 v3, v3, v11, v10
	v_sub_nc_u32_e32 v10, v7, v3
	v_subrev_co_ci_u32_e64 v10, s0, s25, v10, vcc_lo
	v_add_co_u32 v11, s0, v8, 2
	v_add_co_ci_u32_e64 v12, s0, 0, v9, s0
	v_sub_co_u32 v13, s0, v2, s24
	v_sub_co_ci_u32_e32 v3, vcc_lo, v7, v3, vcc_lo
	v_subrev_co_ci_u32_e64 v10, s0, 0, v10, s0
	v_cmp_le_u32_e32 vcc_lo, s24, v13
	v_cmp_eq_u32_e64 s0, s25, v3
	v_cndmask_b32_e64 v13, 0, -1, vcc_lo
	v_cmp_le_u32_e32 vcc_lo, s25, v10
	v_cndmask_b32_e64 v14, 0, -1, vcc_lo
	v_cmp_le_u32_e32 vcc_lo, s24, v2
	;; [unrolled: 2-line block ×3, first 2 shown]
	v_cndmask_b32_e64 v15, 0, -1, vcc_lo
	v_cmp_eq_u32_e32 vcc_lo, s25, v10
	v_cndmask_b32_e64 v2, v15, v2, s0
	v_cndmask_b32_e32 v10, v14, v13, vcc_lo
	v_add_co_u32 v13, vcc_lo, v8, 1
	v_add_co_ci_u32_e32 v14, vcc_lo, 0, v9, vcc_lo
	v_cmp_ne_u32_e32 vcc_lo, 0, v10
	v_cndmask_b32_e32 v3, v14, v12, vcc_lo
	v_cndmask_b32_e32 v10, v13, v11, vcc_lo
	v_cmp_ne_u32_e32 vcc_lo, 0, v2
	v_cndmask_b32_e32 v131, v9, v3, vcc_lo
	v_cndmask_b32_e32 v130, v8, v10, vcc_lo
.LBB0_4:                                ;   in Loop: Header=BB0_2 Depth=1
	s_andn2_saveexec_b32 s0, s1
	s_cbranch_execz .LBB0_6
; %bb.5:                                ;   in Loop: Header=BB0_2 Depth=1
	v_cvt_f32_u32_e32 v2, s24
	s_sub_i32 s1, 0, s24
	v_mov_b32_e32 v131, v1
	v_rcp_iflag_f32_e32 v2, v2
	v_mul_f32_e32 v2, 0x4f7ffffe, v2
	v_cvt_u32_f32_e32 v2, v2
	v_mul_lo_u32 v3, s1, v2
	v_mul_hi_u32 v3, v2, v3
	v_add_nc_u32_e32 v2, v2, v3
	v_mul_hi_u32 v2, v6, v2
	v_mul_lo_u32 v3, v2, s24
	v_add_nc_u32_e32 v8, 1, v2
	v_sub_nc_u32_e32 v3, v6, v3
	v_subrev_nc_u32_e32 v9, s24, v3
	v_cmp_le_u32_e32 vcc_lo, s24, v3
	v_cndmask_b32_e32 v3, v3, v9, vcc_lo
	v_cndmask_b32_e32 v2, v2, v8, vcc_lo
	v_cmp_le_u32_e32 vcc_lo, s24, v3
	v_add_nc_u32_e32 v8, 1, v2
	v_cndmask_b32_e32 v130, v2, v8, vcc_lo
.LBB0_6:                                ;   in Loop: Header=BB0_2 Depth=1
	s_or_b32 exec_lo, exec_lo, s0
	v_mul_lo_u32 v8, v131, s24
	v_mul_lo_u32 v9, v130, s25
	s_load_dwordx2 s[0:1], s[6:7], 0x0
	v_mad_u64_u32 v[2:3], null, v130, s24, 0
	s_load_dwordx2 s[24:25], s[2:3], 0x0
	s_add_u32 s22, s22, 1
	s_addc_u32 s23, s23, 0
	s_add_u32 s2, s2, 8
	s_addc_u32 s3, s3, 0
	s_add_u32 s6, s6, 8
	v_add3_u32 v3, v3, v9, v8
	v_sub_co_u32 v2, vcc_lo, v6, v2
	s_addc_u32 s7, s7, 0
	s_add_u32 s20, s20, 8
	v_sub_co_ci_u32_e32 v3, vcc_lo, v7, v3, vcc_lo
	s_addc_u32 s21, s21, 0
	s_waitcnt lgkmcnt(0)
	v_mul_lo_u32 v6, s0, v3
	v_mul_lo_u32 v7, s1, v2
	v_mad_u64_u32 v[4:5], null, s0, v2, v[4:5]
	v_mul_lo_u32 v3, s24, v3
	v_mul_lo_u32 v8, s25, v2
	v_mad_u64_u32 v[128:129], null, s24, v2, v[128:129]
	v_cmp_ge_u64_e64 s0, s[22:23], s[10:11]
	v_add3_u32 v5, v7, v5, v6
	v_add3_u32 v129, v8, v129, v3
	s_and_b32 vcc_lo, exec_lo, s0
	s_cbranch_vccnz .LBB0_9
; %bb.7:                                ;   in Loop: Header=BB0_2 Depth=1
	v_mov_b32_e32 v6, v130
	v_mov_b32_e32 v7, v131
	s_branch .LBB0_2
.LBB0_8:
	v_mov_b32_e32 v129, v5
	v_mov_b32_e32 v131, v7
	;; [unrolled: 1-line block ×4, first 2 shown]
.LBB0_9:
	s_load_dwordx2 s[0:1], s[4:5], 0x28
	v_mul_hi_u32 v1, 0x4924925, v0
	s_lshl_b64 s[4:5], s[10:11], 3
                                        ; implicit-def: $vgpr140
	s_add_u32 s2, s18, s4
	s_addc_u32 s3, s19, s5
	s_waitcnt lgkmcnt(0)
	v_cmp_gt_u64_e32 vcc_lo, s[0:1], v[130:131]
	v_cmp_le_u64_e64 s0, s[0:1], v[130:131]
	s_and_saveexec_b32 s1, s0
	s_xor_b32 s0, exec_lo, s1
; %bb.10:
	v_mul_u32_u24_e32 v1, 56, v1
                                        ; implicit-def: $vgpr4_vgpr5
	v_sub_nc_u32_e32 v140, v0, v1
                                        ; implicit-def: $vgpr1
                                        ; implicit-def: $vgpr0
; %bb.11:
	s_or_saveexec_b32 s1, s0
	s_load_dwordx2 s[2:3], s[2:3], 0x0
                                        ; implicit-def: $vgpr48_vgpr49
                                        ; implicit-def: $vgpr34_vgpr35
                                        ; implicit-def: $vgpr26_vgpr27
                                        ; implicit-def: $vgpr6_vgpr7
                                        ; implicit-def: $vgpr40_vgpr41
                                        ; implicit-def: $vgpr14_vgpr15
                                        ; implicit-def: $vgpr44_vgpr45
                                        ; implicit-def: $vgpr18_vgpr19
                                        ; implicit-def: $vgpr52_vgpr53
                                        ; implicit-def: $vgpr22_vgpr23
                                        ; implicit-def: $vgpr56_vgpr57
                                        ; implicit-def: $vgpr30_vgpr31
                                        ; implicit-def: $vgpr60_vgpr61
                                        ; implicit-def: $vgpr2_vgpr3
                                        ; implicit-def: $vgpr64_vgpr65
                                        ; implicit-def: $vgpr10_vgpr11
	s_xor_b32 exec_lo, exec_lo, s1
	s_cbranch_execz .LBB0_15
; %bb.12:
	s_add_u32 s4, s16, s4
	s_addc_u32 s5, s17, s5
                                        ; implicit-def: $vgpr32_vgpr33
                                        ; implicit-def: $vgpr46_vgpr47
	s_load_dwordx2 s[4:5], s[4:5], 0x0
	s_waitcnt lgkmcnt(0)
	v_mul_lo_u32 v6, s5, v130
	v_mul_lo_u32 v7, s4, v131
	v_mad_u64_u32 v[2:3], null, s4, v130, 0
	s_mov_b32 s4, exec_lo
	v_add3_u32 v3, v3, v7, v6
	v_mul_u32_u24_e32 v6, 56, v1
	v_lshlrev_b64 v[1:2], 4, v[2:3]
	v_lshlrev_b64 v[3:4], 4, v[4:5]
	v_sub_nc_u32_e32 v140, v0, v6
	v_add_co_u32 v0, s0, s12, v1
	v_add_co_ci_u32_e64 v1, s0, s13, v2, s0
	v_lshlrev_b32_e32 v2, 4, v140
	v_add_co_u32 v0, s0, v0, v3
	v_add_co_ci_u32_e64 v1, s0, v1, v4, s0
	v_add_co_u32 v34, s0, v0, v2
	v_add_co_ci_u32_e64 v35, s0, 0, v1, s0
	s_clause 0x1
	global_load_dwordx4 v[8:11], v[34:35], off
	global_load_dwordx4 v[0:3], v[34:35], off offset:896
	v_add_co_u32 v36, s0, 0x1800, v34
	v_add_co_ci_u32_e64 v37, s0, 0, v35, s0
	v_add_co_u32 v4, s0, 0x2000, v34
	v_add_co_ci_u32_e64 v5, s0, 0, v35, s0
	;; [unrolled: 2-line block ×5, first 2 shown]
	s_clause 0xb
	global_load_dwordx4 v[58:61], v[36:37], off offset:1472
	global_load_dwordx4 v[54:57], v[4:5], off offset:320
	global_load_dwordx4 v[20:23], v[6:7], off offset:640
	global_load_dwordx4 v[50:53], v[4:5], off offset:1216
	global_load_dwordx4 v[16:19], v[6:7], off offset:1536
	global_load_dwordx4 v[42:45], v[24:25], off offset:64
	global_load_dwordx4 v[12:15], v[26:27], off offset:384
	global_load_dwordx4 v[4:7], v[26:27], off offset:1280
	global_load_dwordx4 v[38:41], v[24:25], off offset:960
	global_load_dwordx4 v[24:27], v[24:25], off offset:1856
	global_load_dwordx4 v[62:65], v[36:37], off offset:576
	global_load_dwordx4 v[28:31], v[34:35], off offset:1792
	v_cmpx_gt_u32_e32 28, v140
; %bb.13:
	v_add_co_u32 v46, s0, 0x3000, v34
	v_add_co_ci_u32_e64 v47, s0, 0, v35, s0
	s_clause 0x1
	global_load_dwordx4 v[32:35], v[36:37], off offset:128
	global_load_dwordx4 v[46:49], v[46:47], off offset:704
; %bb.14:
	s_or_b32 exec_lo, exec_lo, s4
.LBB0_15:
	s_or_b32 exec_lo, exec_lo, s1
	s_waitcnt vmcnt(1)
	v_add_f64 v[68:69], v[8:9], -v[62:63]
	v_add_f64 v[88:89], v[12:13], -v[38:39]
	s_waitcnt vmcnt(0)
	v_add_f64 v[38:39], v[32:33], -v[46:47]
	v_add_f64 v[72:73], v[0:1], -v[58:59]
	v_add_f64 v[76:77], v[28:29], -v[54:55]
	v_add_f64 v[80:81], v[20:21], -v[50:51]
	v_add_f64 v[84:85], v[16:17], -v[42:43]
	v_add_f64 v[92:93], v[4:5], -v[24:25]
	v_add_nc_u32_e32 v98, 56, v140
	v_add_nc_u32_e32 v141, 0x70, v140
	;; [unrolled: 1-line block ×4, first 2 shown]
	v_lshl_add_u32 v24, v140, 4, 0
	v_cmp_gt_u32_e64 s0, 28, v140
	v_fma_f64 v[66:67], v[8:9], 2.0, -v[68:69]
	v_fma_f64 v[86:87], v[12:13], 2.0, -v[88:89]
	;; [unrolled: 1-line block ×8, first 2 shown]
	v_add_nc_u32_e32 v0, 0x118, v140
	v_add_nc_u32_e32 v1, 0x150, v140
	;; [unrolled: 1-line block ×3, first 2 shown]
	v_lshl_add_u32 v21, v98, 4, 0
	v_lshl_add_u32 v20, v141, 4, 0
	;; [unrolled: 1-line block ×7, first 2 shown]
	ds_write_b128 v24, v[66:69]
	ds_write_b128 v21, v[70:73]
	ds_write_b128 v20, v[74:77]
	ds_write_b128 v17, v[78:81]
	ds_write_b128 v16, v[82:85]
	ds_write_b128 v13, v[86:89]
	ds_write_b128 v12, v[90:93]
	s_and_saveexec_b32 s1, s0
	s_cbranch_execz .LBB0_17
; %bb.16:
	ds_write_b128 v9, v[36:39]
.LBB0_17:
	s_or_b32 exec_lo, exec_lo, s1
	v_lshl_add_u32 v99, v140, 3, 0
	s_waitcnt lgkmcnt(0)
	s_barrier
	buffer_gl0_inv
	v_add_nc_u32_e32 v4, 0x800, v99
	v_add_nc_u32_e32 v5, 0xc00, v99
	;; [unrolled: 1-line block ×4, first 2 shown]
	ds_read2_b64 v[82:85], v99 offset1:56
	ds_read2_b64 v[78:81], v4 offset0:80 offset1:164
	ds_read2_b64 v[74:77], v5 offset0:92 offset1:148
	;; [unrolled: 1-line block ×6, first 2 shown]
	s_and_saveexec_b32 s1, s0
	s_cbranch_execz .LBB0_19
; %bb.18:
	ds_read_b64 v[36:37], v99 offset:3136
	ds_read_b64 v[38:39], v99 offset:6496
.LBB0_19:
	s_or_b32 exec_lo, exec_lo, s1
	v_add_f64 v[28:29], v[10:11], -v[64:65]
	v_add_f64 v[42:43], v[2:3], -v[60:61]
	;; [unrolled: 1-line block ×8, first 2 shown]
	s_waitcnt lgkmcnt(0)
	s_barrier
	buffer_gl0_inv
	v_fma_f64 v[26:27], v[10:11], 2.0, -v[28:29]
	v_fma_f64 v[40:41], v[2:3], 2.0, -v[42:43]
	;; [unrolled: 1-line block ×8, first 2 shown]
	ds_write_b128 v24, v[26:29]
	ds_write_b128 v21, v[40:43]
	;; [unrolled: 1-line block ×7, first 2 shown]
	s_and_saveexec_b32 s1, s0
	s_cbranch_execz .LBB0_21
; %bb.20:
	ds_write_b128 v9, v[2:5]
.LBB0_21:
	s_or_b32 exec_lo, exec_lo, s1
	v_add_nc_u32_e32 v6, 0x800, v99
	v_add_nc_u32_e32 v7, 0xc00, v99
	v_add_nc_u32_e32 v9, 0x1000, v99
	v_add_nc_u32_e32 v10, 0x400, v99
	s_waitcnt lgkmcnt(0)
	s_barrier
	buffer_gl0_inv
	ds_read2_b64 v[22:25], v99 offset1:56
	ds_read2_b64 v[26:29], v6 offset0:80 offset1:164
	ds_read2_b64 v[44:47], v7 offset0:92 offset1:148
	;; [unrolled: 1-line block ×6, first 2 shown]
	v_lshlrev_b32_e32 v109, 1, v140
	v_lshlrev_b32_e32 v108, 1, v98
	;; [unrolled: 1-line block ×7, first 2 shown]
	s_and_saveexec_b32 s1, s0
	s_cbranch_execz .LBB0_23
; %bb.22:
	ds_read_b64 v[2:3], v99 offset:3136
	ds_read_b64 v[4:5], v99 offset:6496
.LBB0_23:
	s_or_b32 exec_lo, exec_lo, s1
	v_and_b32_e32 v64, 1, v140
	v_lshlrev_b32_e32 v103, 1, v8
	v_lshlrev_b32_e32 v0, 4, v64
	v_and_or_b32 v8, 0x7c, v109, v64
	v_and_or_b32 v21, 0xfc, v108, v64
	;; [unrolled: 1-line block ×3, first 2 shown]
	global_load_dwordx4 v[94:97], v0, s[8:9]
	v_lshl_add_u32 v65, v8, 3, 0
	s_waitcnt vmcnt(0) lgkmcnt(0)
	s_barrier
	buffer_gl0_inv
	v_mul_f64 v[0:1], v[28:29], v[96:97]
	v_mul_f64 v[13:14], v[50:51], v[96:97]
	;; [unrolled: 1-line block ×8, first 2 shown]
	v_fma_f64 v[0:1], v[80:81], v[94:95], -v[0:1]
	v_fma_f64 v[13:14], v[72:73], v[94:95], -v[13:14]
	;; [unrolled: 1-line block ×8, first 2 shown]
	v_add_f64 v[34:35], v[82:83], -v[0:1]
	v_add_f64 v[13:14], v[90:91], -v[13:14]
	;; [unrolled: 1-line block ×8, first 2 shown]
	v_fma_f64 v[19:20], v[82:83], 2.0, -v[34:35]
	v_fma_f64 v[62:63], v[90:91], 2.0, -v[13:14]
	;; [unrolled: 1-line block ×8, first 2 shown]
	v_and_or_b32 v36, 0x1fc, v106, v64
	v_and_or_b32 v37, 0x3fc, v105, v64
	;; [unrolled: 1-line block ×4, first 2 shown]
	v_lshl_add_u32 v82, v21, 3, 0
	v_lshl_add_u32 v83, v110, 3, 0
	;; [unrolled: 1-line block ×6, first 2 shown]
	ds_write2_b64 v65, v[19:20], v[34:35] offset1:2
	ds_write2_b64 v82, v[56:57], v[6:7] offset1:2
	;; [unrolled: 1-line block ×7, first 2 shown]
	s_and_saveexec_b32 s1, s0
	s_cbranch_execz .LBB0_25
; %bb.24:
	v_and_or_b32 v6, 0x37c, v103, v64
	v_lshl_add_u32 v6, v6, 3, 0
	ds_write2_b64 v6, v[78:79], v[0:1] offset1:2
.LBB0_25:
	s_or_b32 exec_lo, exec_lo, s1
	v_add_nc_u32_e32 v6, 0x800, v99
	v_add_nc_u32_e32 v7, 0xc00, v99
	;; [unrolled: 1-line block ×4, first 2 shown]
	s_waitcnt lgkmcnt(0)
	s_barrier
	buffer_gl0_inv
	ds_read2_b64 v[34:37], v99 offset1:56
	ds_read2_b64 v[18:21], v6 offset0:80 offset1:164
	ds_read2_b64 v[14:17], v7 offset0:92 offset1:148
	;; [unrolled: 1-line block ×6, first 2 shown]
	s_and_saveexec_b32 s1, s0
	s_cbranch_execz .LBB0_27
; %bb.26:
	ds_read_b64 v[78:79], v99 offset:3136
	ds_read_b64 v[0:1], v99 offset:6496
.LBB0_27:
	s_or_b32 exec_lo, exec_lo, s1
	v_mul_f64 v[80:81], v[80:81], v[96:97]
	v_mul_f64 v[38:39], v[38:39], v[96:97]
	;; [unrolled: 1-line block ×8, first 2 shown]
	s_waitcnt lgkmcnt(0)
	s_barrier
	buffer_gl0_inv
	v_fma_f64 v[28:29], v[28:29], v[94:95], v[80:81]
	v_fma_f64 v[4:5], v[4:5], v[94:95], v[38:39]
	;; [unrolled: 1-line block ×8, first 2 shown]
	v_add_f64 v[28:29], v[22:23], -v[28:29]
	v_add_f64 v[38:39], v[2:3], -v[4:5]
	;; [unrolled: 1-line block ×8, first 2 shown]
	v_fma_f64 v[22:23], v[22:23], 2.0, -v[28:29]
	v_fma_f64 v[4:5], v[2:3], 2.0, -v[38:39]
	;; [unrolled: 1-line block ×8, first 2 shown]
	ds_write2_b64 v65, v[22:23], v[28:29] offset1:2
	ds_write2_b64 v82, v[24:25], v[44:45] offset1:2
	;; [unrolled: 1-line block ×7, first 2 shown]
	s_and_saveexec_b32 s1, s0
	s_cbranch_execz .LBB0_29
; %bb.28:
	v_and_or_b32 v2, 0x37c, v103, v64
	v_lshl_add_u32 v2, v2, 3, 0
	ds_write2_b64 v2, v[4:5], v[38:39] offset1:2
.LBB0_29:
	s_or_b32 exec_lo, exec_lo, s1
	v_add_nc_u32_e32 v2, 0x800, v99
	v_add_nc_u32_e32 v3, 0xc00, v99
	;; [unrolled: 1-line block ×4, first 2 shown]
	s_waitcnt lgkmcnt(0)
	s_barrier
	buffer_gl0_inv
	ds_read2_b64 v[22:25], v99 offset1:56
	ds_read2_b64 v[26:29], v2 offset0:80 offset1:164
	ds_read2_b64 v[30:33], v3 offset0:92 offset1:148
	;; [unrolled: 1-line block ×6, first 2 shown]
	s_and_saveexec_b32 s1, s0
	s_cbranch_execz .LBB0_31
; %bb.30:
	ds_read_b64 v[4:5], v99 offset:3136
	ds_read_b64 v[38:39], v99 offset:6496
.LBB0_31:
	s_or_b32 exec_lo, exec_lo, s1
	v_and_b32_e32 v68, 3, v140
	v_lshlrev_b32_e32 v2, 4, v68
	v_and_or_b32 v77, 0x78, v109, v68
	v_and_or_b32 v94, 0xf8, v108, v68
	;; [unrolled: 1-line block ×3, first 2 shown]
	global_load_dwordx4 v[64:67], v2, s[8:9] offset:32
	s_waitcnt vmcnt(0) lgkmcnt(0)
	s_barrier
	buffer_gl0_inv
	v_mul_f64 v[2:3], v[28:29], v[66:67]
	v_mul_f64 v[69:70], v[30:31], v[66:67]
	;; [unrolled: 1-line block ×8, first 2 shown]
	v_fma_f64 v[2:3], v[20:21], v[64:65], -v[2:3]
	v_fma_f64 v[69:70], v[14:15], v[64:65], -v[69:70]
	v_fma_f64 v[71:72], v[16:17], v[64:65], -v[71:72]
	v_fma_f64 v[73:74], v[10:11], v[64:65], -v[73:74]
	v_fma_f64 v[75:76], v[12:13], v[64:65], -v[75:76]
	v_fma_f64 v[80:81], v[6:7], v[64:65], -v[80:81]
	v_fma_f64 v[82:83], v[8:9], v[64:65], -v[82:83]
	v_add_f64 v[86:87], v[34:35], -v[2:3]
	v_fma_f64 v[2:3], v[0:1], v[64:65], -v[84:85]
	v_add_f64 v[69:70], v[36:37], -v[69:70]
	v_add_f64 v[71:72], v[56:57], -v[71:72]
	;; [unrolled: 1-line block ×6, first 2 shown]
	v_fma_f64 v[34:35], v[34:35], 2.0, -v[86:87]
	v_add_f64 v[2:3], v[78:79], -v[2:3]
	v_fma_f64 v[36:37], v[36:37], 2.0, -v[69:70]
	v_fma_f64 v[84:85], v[56:57], 2.0, -v[71:72]
	;; [unrolled: 1-line block ×6, first 2 shown]
	v_and_or_b32 v59, 0x1f8, v106, v68
	v_and_or_b32 v60, 0x3f8, v105, v68
	;; [unrolled: 1-line block ×4, first 2 shown]
	v_lshl_add_u32 v56, v77, 3, 0
	v_lshl_add_u32 v57, v94, 3, 0
	v_lshl_add_u32 v58, v95, 3, 0
	v_lshl_add_u32 v59, v59, 3, 0
	v_lshl_add_u32 v60, v60, 3, 0
	v_lshl_add_u32 v61, v61, 3, 0
	v_lshl_add_u32 v62, v62, 3, 0
	ds_write2_b64 v56, v[34:35], v[86:87] offset1:4
	ds_write2_b64 v57, v[36:37], v[69:70] offset1:4
	ds_write2_b64 v58, v[84:85], v[71:72] offset1:4
	ds_write2_b64 v59, v[88:89], v[73:74] offset1:4
	ds_write2_b64 v60, v[90:91], v[75:76] offset1:4
	ds_write2_b64 v61, v[92:93], v[80:81] offset1:4
	ds_write2_b64 v62, v[18:19], v[82:83] offset1:4
	s_and_saveexec_b32 s1, s0
	s_cbranch_execz .LBB0_33
; %bb.32:
	v_fma_f64 v[18:19], v[78:79], 2.0, -v[2:3]
	v_and_or_b32 v34, 0x378, v103, v68
	v_lshl_add_u32 v34, v34, 3, 0
	ds_write2_b64 v34, v[18:19], v[2:3] offset1:4
.LBB0_33:
	s_or_b32 exec_lo, exec_lo, s1
	v_mul_f64 v[18:19], v[20:21], v[66:67]
	v_mul_f64 v[6:7], v[6:7], v[66:67]
	;; [unrolled: 1-line block ×8, first 2 shown]
	v_add_nc_u32_e32 v97, 0x400, v99
	v_add_nc_u32_e32 v96, 0x1000, v99
	;; [unrolled: 1-line block ×3, first 2 shown]
	s_waitcnt lgkmcnt(0)
	s_barrier
	buffer_gl0_inv
	v_fma_f64 v[18:19], v[28:29], v[64:65], v[18:19]
	v_fma_f64 v[6:7], v[52:53], v[64:65], v[6:7]
	;; [unrolled: 1-line block ×7, first 2 shown]
	v_add_f64 v[20:21], v[22:23], -v[18:19]
	v_add_f64 v[52:53], v[46:47], -v[6:7]
	v_fma_f64 v[6:7], v[38:39], v[64:65], v[0:1]
	v_add_f64 v[28:29], v[24:25], -v[14:15]
	v_add_f64 v[30:31], v[40:41], -v[16:17]
	;; [unrolled: 1-line block ×5, first 2 shown]
	ds_read2_b64 v[8:11], v99 offset1:56
	ds_read2_b64 v[12:15], v99 offset0:112 offset1:168
	ds_read_b64 v[0:1], v99 offset:6272
	ds_read2_b64 v[16:19], v97 offset0:96 offset1:152
	ds_read2_b64 v[36:39], v96 offset0:48 offset1:104
	;; [unrolled: 1-line block ×3, first 2 shown]
	v_fma_f64 v[22:23], v[22:23], 2.0, -v[20:21]
	v_fma_f64 v[71:72], v[46:47], 2.0, -v[52:53]
	v_add_f64 v[6:7], v[4:5], -v[6:7]
	v_fma_f64 v[24:25], v[24:25], 2.0, -v[28:29]
	v_fma_f64 v[63:64], v[40:41], 2.0, -v[30:31]
	;; [unrolled: 1-line block ×4, first 2 shown]
	ds_read2_b64 v[44:47], v96 offset0:160 offset1:216
	ds_read2_b64 v[40:43], v100 offset0:192 offset1:248
	v_fma_f64 v[26:27], v[26:27], 2.0, -v[54:55]
	s_waitcnt lgkmcnt(0)
	s_barrier
	buffer_gl0_inv
	ds_write2_b64 v56, v[22:23], v[20:21] offset1:4
	ds_write2_b64 v57, v[24:25], v[28:29] offset1:4
	;; [unrolled: 1-line block ×7, first 2 shown]
	s_and_saveexec_b32 s1, s0
	s_cbranch_execz .LBB0_35
; %bb.34:
	v_fma_f64 v[4:5], v[4:5], 2.0, -v[6:7]
	v_and_or_b32 v20, 0x378, v103, v68
	v_lshl_add_u32 v20, v20, 3, 0
	ds_write2_b64 v20, v[4:5], v[6:7] offset1:4
.LBB0_35:
	s_or_b32 exec_lo, exec_lo, s1
	v_and_b32_e32 v72, 7, v140
	s_waitcnt lgkmcnt(0)
	s_barrier
	buffer_gl0_inv
	v_lshrrev_b32_e32 v73, 3, v140
	v_lshlrev_b32_e32 v4, 5, v72
	v_lshrrev_b32_e32 v74, 3, v98
	v_lshrrev_b32_e32 v75, 3, v141
	v_lshrrev_b32_e32 v76, 3, v102
	v_lshrrev_b32_e32 v77, 3, v101
	s_clause 0x1
	global_load_dwordx4 v[48:51], v4, s[8:9] offset:112
	global_load_dwordx4 v[52:55], v4, s[8:9] offset:96
	ds_read2_b64 v[60:63], v96 offset0:48 offset1:104
	ds_read2_b64 v[28:31], v99 offset1:56
	ds_read2_b64 v[20:23], v97 offset0:96 offset1:152
	ds_read2_b64 v[64:67], v100 offset0:80 offset1:136
	;; [unrolled: 1-line block ×5, first 2 shown]
	ds_read_b64 v[4:5], v99 offset:6272
	v_and_b32_e32 v80, 0xff, v141
	v_mul_u32_u24_e32 v73, 24, v73
	v_mul_u32_u24_e32 v74, 24, v74
	;; [unrolled: 1-line block ×4, first 2 shown]
	v_and_b32_e32 v78, 0xff, v140
	v_and_b32_e32 v79, 0xff, v98
	v_mul_u32_u24_e32 v77, 24, v77
	v_mul_lo_u16 v80, 0xab, v80
	v_or_b32_e32 v73, v73, v72
	v_or_b32_e32 v74, v74, v72
	;; [unrolled: 1-line block ×4, first 2 shown]
	v_mul_lo_u16 v78, 0xab, v78
	v_mul_lo_u16 v79, 0xab, v79
	v_or_b32_e32 v104, v77, v72
	v_lshrrev_b16 v101, 12, v80
	v_lshl_add_u32 v117, v73, 3, 0
	v_lshl_add_u32 v118, v74, 3, 0
	;; [unrolled: 1-line block ×4, first 2 shown]
	v_lshrrev_b16 v103, 12, v78
	v_lshrrev_b16 v102, 12, v79
	v_lshl_add_u32 v122, v104, 3, 0
	s_mov_b32 s0, 0xe8584caa
	s_mov_b32 s1, 0x3febb67a
	s_mov_b32 s5, 0xbfebb67a
	s_mov_b32 s4, s0
	v_mul_lo_u16 v119, v103, 24
	v_mov_b32_e32 v116, 6
	s_waitcnt vmcnt(0) lgkmcnt(0)
	s_barrier
	buffer_gl0_inv
	s_mov_b32 s7, 0xbfee6f0e
	s_mov_b32 s10, 0x4755a5e
	;; [unrolled: 1-line block ×7, first 2 shown]
	v_mul_f64 v[72:73], v[60:61], v[50:51]
	v_mul_f64 v[74:75], v[62:63], v[50:51]
	;; [unrolled: 1-line block ×20, first 2 shown]
	v_fma_f64 v[36:37], v[36:37], v[48:49], -v[72:73]
	v_fma_f64 v[38:39], v[38:39], v[48:49], -v[74:75]
	;; [unrolled: 1-line block ×4, first 2 shown]
	v_fma_f64 v[22:23], v[22:23], v[52:53], v[92:93]
	v_fma_f64 v[60:61], v[60:61], v[48:49], v[94:95]
	v_fma_f64 v[33:34], v[34:35], v[52:53], -v[78:79]
	v_fma_f64 v[44:45], v[44:45], v[48:49], -v[82:83]
	;; [unrolled: 1-line block ×4, first 2 shown]
	v_fma_f64 v[62:63], v[62:63], v[48:49], v[104:105]
	v_fma_f64 v[64:65], v[64:65], v[52:53], v[106:107]
	;; [unrolled: 1-line block ×4, first 2 shown]
	v_fma_f64 v[46:47], v[46:47], v[48:49], -v[84:85]
	v_fma_f64 v[40:41], v[40:41], v[52:53], -v[86:87]
	v_fma_f64 v[70:71], v[70:71], v[48:49], v[112:113]
	v_fma_f64 v[56:57], v[56:57], v[52:53], v[114:115]
	;; [unrolled: 1-line block ×4, first 2 shown]
	v_mul_lo_u16 v19, v102, 24
	v_sub_nc_u16 v18, v140, v119
	v_mul_lo_u16 v32, v101, 24
	v_add_f64 v[50:51], v[72:73], v[38:39]
	v_add_f64 v[48:49], v[74:75], v[36:37]
	;; [unrolled: 1-line block ×6, first 2 shown]
	v_add_f64 v[74:75], v[74:75], -v[36:37]
	v_add_f64 v[76:77], v[42:43], v[0:1]
	v_add_f64 v[84:85], v[10:11], v[72:73]
	;; [unrolled: 1-line block ×3, first 2 shown]
	v_add_f64 v[22:23], v[22:23], -v[60:61]
	v_add_f64 v[104:105], v[66:67], v[68:69]
	v_add_f64 v[86:87], v[30:31], v[64:65]
	;; [unrolled: 1-line block ×8, first 2 shown]
	v_add_f64 v[66:67], v[66:67], -v[68:69]
	v_add_f64 v[112:113], v[56:57], -v[70:71]
	v_add_f64 v[56:57], v[26:27], v[56:57]
	v_fma_f64 v[10:11], v[50:51], -0.5, v[10:11]
	v_fma_f64 v[8:9], v[48:49], -0.5, v[8:9]
	v_add_f64 v[50:51], v[20:21], v[52:53]
	v_fma_f64 v[28:29], v[82:83], -0.5, v[28:29]
	v_add_f64 v[48:49], v[52:53], -v[4:5]
	v_fma_f64 v[12:13], v[54:55], -0.5, v[12:13]
	v_add_f64 v[64:65], v[64:65], -v[62:63]
	;; [unrolled: 2-line block ×4, first 2 shown]
	v_fma_f64 v[24:25], v[104:105], -0.5, v[24:25]
	v_add_f64 v[94:95], v[14:15], v[40:41]
	v_add_f64 v[40:41], v[40:41], -v[46:47]
	v_fma_f64 v[14:15], v[58:59], -0.5, v[14:15]
	v_fma_f64 v[26:27], v[108:109], -0.5, v[26:27]
	v_add_f64 v[42:43], v[42:43], -v[0:1]
	v_fma_f64 v[20:21], v[110:111], -0.5, v[20:21]
	v_add_f64 v[35:36], v[78:79], v[36:37]
	v_add_f64 v[52:53], v[80:81], v[60:61]
	;; [unrolled: 1-line block ×5, first 2 shown]
	v_fma_f64 v[60:61], v[22:23], s[0:1], v[8:9]
	v_add_f64 v[4:5], v[50:51], v[4:5]
	v_fma_f64 v[50:51], v[74:75], s[4:5], v[28:29]
	v_fma_f64 v[8:9], v[22:23], s[4:5], v[8:9]
	;; [unrolled: 1-line block ×6, first 2 shown]
	v_add_f64 v[48:49], v[56:57], v[70:71]
	v_fma_f64 v[56:57], v[74:75], s[0:1], v[28:29]
	v_fma_f64 v[22:23], v[64:65], s[0:1], v[10:11]
	;; [unrolled: 1-line block ×5, first 2 shown]
	v_add_f64 v[44:45], v[90:91], v[44:45]
	v_fma_f64 v[72:73], v[33:34], s[4:5], v[24:25]
	v_fma_f64 v[74:75], v[33:34], s[0:1], v[24:25]
	v_add_f64 v[46:47], v[94:95], v[46:47]
	v_fma_f64 v[64:65], v[112:113], s[0:1], v[14:15]
	v_fma_f64 v[76:77], v[40:41], s[4:5], v[26:27]
	;; [unrolled: 1-line block ×4, first 2 shown]
	v_add_f64 v[0:1], v[106:107], v[0:1]
	v_fma_f64 v[80:81], v[42:43], s[4:5], v[20:21]
	v_fma_f64 v[20:21], v[42:43], s[0:1], v[20:21]
	v_sub_nc_u16 v19, v98, v19
	v_lshlrev_b32_sdwa v114, v116, v18 dst_sel:DWORD dst_unused:UNUSED_PAD src0_sel:DWORD src1_sel:BYTE_0
	ds_write2_b64 v117, v[35:36], v[60:61] offset1:8
	ds_write_b64 v117, v[8:9] offset:128
	ds_write2_b64 v118, v[37:38], v[22:23] offset1:8
	ds_write_b64 v118, v[10:11] offset:128
	;; [unrolled: 2-line block ×5, first 2 shown]
	v_lshlrev_b32_sdwa v115, v116, v19 dst_sel:DWORD dst_unused:UNUSED_PAD src0_sel:DWORD src1_sel:BYTE_0
	s_waitcnt lgkmcnt(0)
	s_barrier
	buffer_gl0_inv
	ds_read2_b64 v[8:11], v99 offset1:56
	ds_read2_b64 v[12:15], v99 offset0:112 offset1:168
	ds_read2_b64 v[24:27], v100 offset0:80 offset1:136
	;; [unrolled: 1-line block ×6, first 2 shown]
	ds_read_b64 v[0:1], v99 offset:6272
	s_waitcnt lgkmcnt(0)
	s_barrier
	buffer_gl0_inv
	ds_write2_b64 v117, v[52:53], v[50:51] offset1:8
	ds_write_b64 v117, v[56:57] offset:128
	ds_write2_b64 v118, v[54:55], v[68:69] offset1:8
	ds_write_b64 v118, v[70:71] offset:128
	;; [unrolled: 2-line block ×5, first 2 shown]
	s_waitcnt lgkmcnt(0)
	s_barrier
	buffer_gl0_inv
	s_clause 0x3
	global_load_dwordx4 v[45:48], v114, s[8:9] offset:368
	global_load_dwordx4 v[52:55], v115, s[8:9] offset:368
	;; [unrolled: 1-line block ×4, first 2 shown]
	v_sub_nc_u16 v32, v141, v32
	s_mov_b32 s4, 0x134454ff
	s_mov_b32 s5, 0x3fee6f0e
	;; [unrolled: 1-line block ×3, first 2 shown]
	v_cmp_gt_u32_e64 s0, 8, v140
	v_lshlrev_b32_sdwa v4, v116, v32 dst_sel:DWORD dst_unused:UNUSED_PAD src0_sel:DWORD src1_sel:BYTE_0
	s_clause 0x7
	global_load_dwordx4 v[80:83], v114, s[8:9] offset:352
	global_load_dwordx4 v[88:91], v115, s[8:9] offset:400
	;; [unrolled: 1-line block ×8, first 2 shown]
	ds_read2_b64 v[84:87], v100 offset0:80 offset1:136
	ds_read2_b64 v[124:127], v100 offset0:192 offset1:248
	;; [unrolled: 1-line block ×6, first 2 shown]
	ds_read_b64 v[16:17], v99 offset:6272
	s_waitcnt vmcnt(11) lgkmcnt(6)
	v_mul_f64 v[4:5], v[84:85], v[47:48]
	v_mul_f64 v[146:147], v[24:25], v[47:48]
	s_waitcnt vmcnt(9) lgkmcnt(4)
	v_mul_f64 v[56:57], v[132:133], v[74:75]
	s_waitcnt vmcnt(8)
	v_mul_f64 v[49:50], v[126:127], v[78:79]
	s_waitcnt vmcnt(7) lgkmcnt(3)
	v_mul_f64 v[58:59], v[22:23], v[82:83]
	v_mul_f64 v[47:48], v[86:87], v[54:55]
	s_waitcnt vmcnt(5) lgkmcnt(2)
	v_mul_f64 v[64:65], v[136:137], v[106:107]
	;; [unrolled: 3-line block ×3, first 2 shown]
	s_waitcnt vmcnt(2)
	v_mul_f64 v[152:153], v[124:125], v[114:115]
	s_waitcnt vmcnt(1)
	v_mul_f64 v[154:155], v[138:139], v[118:119]
	v_mul_f64 v[150:151], v[144:145], v[110:111]
	s_waitcnt vmcnt(0) lgkmcnt(0)
	v_mul_f64 v[156:157], v[16:17], v[122:123]
	v_mul_f64 v[74:75], v[33:34], v[74:75]
	;; [unrolled: 1-line block ×10, first 2 shown]
	v_fma_f64 v[60:61], v[24:25], v[45:46], -v[4:5]
	v_mul_f64 v[114:115], v[28:29], v[114:115]
	v_fma_f64 v[68:69], v[33:34], v[72:73], -v[56:57]
	v_fma_f64 v[66:67], v[30:31], v[76:77], -v[49:50]
	;; [unrolled: 1-line block ×9, first 2 shown]
	v_mul_f64 v[118:119], v[43:44], v[118:119]
	v_fma_f64 v[50:51], v[39:40], v[108:109], -v[150:151]
	v_fma_f64 v[64:65], v[0:1], v[120:121], -v[156:157]
	v_fma_f64 v[72:73], v[132:133], v[72:73], v[74:75]
	v_fma_f64 v[92:93], v[142:143], v[92:93], v[94:95]
	v_fma_f64 v[94:95], v[22:23], v[80:81], v[82:83]
	v_fma_f64 v[84:85], v[84:85], v[45:46], v[146:147]
	v_fma_f64 v[78:79], v[126:127], v[76:77], v[78:79]
	v_fma_f64 v[74:75], v[134:135], v[88:89], v[90:91]
	v_fma_f64 v[86:87], v[86:87], v[52:53], v[54:55]
	v_fma_f64 v[80:81], v[136:137], v[104:105], v[106:107]
	v_fma_f64 v[76:77], v[16:17], v[120:121], v[122:123]
	v_fma_f64 v[88:89], v[144:145], v[108:109], v[110:111]
	v_fma_f64 v[90:91], v[124:125], v[112:113], v[114:115]
	v_add_f64 v[0:1], v[60:61], v[66:67]
	v_add_f64 v[14:15], v[70:71], v[68:69]
	;; [unrolled: 1-line block ×4, first 2 shown]
	v_add_f64 v[30:31], v[70:71], -v[60:61]
	v_add_f64 v[16:17], v[62:63], v[58:59]
	v_add_f64 v[39:40], v[10:11], v[62:63]
	;; [unrolled: 1-line block ×3, first 2 shown]
	v_fma_f64 v[82:83], v[138:139], v[116:117], v[118:119]
	v_add_f64 v[41:42], v[12:13], v[50:51]
	v_add_f64 v[28:29], v[50:51], v[64:65]
	v_add_f64 v[33:34], v[68:69], -v[66:67]
	v_add_f64 v[37:38], v[60:61], -v[70:71]
	;; [unrolled: 1-line block ×11, first 2 shown]
	v_fma_f64 v[0:1], v[0:1], -0.5, v[8:9]
	v_fma_f64 v[8:9], v[14:15], -0.5, v[8:9]
	v_add_f64 v[14:15], v[86:87], -v[80:81]
	v_fma_f64 v[22:23], v[22:23], -0.5, v[10:11]
	v_add_f64 v[35:36], v[35:36], v[60:61]
	v_fma_f64 v[10:11], v[16:17], -0.5, v[10:11]
	v_add_f64 v[39:40], v[39:40], v[4:5]
	v_fma_f64 v[24:25], v[24:25], -0.5, v[12:13]
	v_add_f64 v[16:17], v[90:91], -v[82:83]
	v_add_f64 v[114:115], v[64:65], -v[56:57]
	v_fma_f64 v[12:13], v[28:29], -0.5, v[12:13]
	v_add_f64 v[28:29], v[66:67], -v[68:69]
	v_add_f64 v[41:42], v[41:42], v[26:27]
	v_add_f64 v[116:117], v[26:27], -v[50:51]
	v_add_f64 v[118:119], v[56:57], -v[64:65]
	v_add_f64 v[30:31], v[30:31], v[33:34]
	v_add_f64 v[33:34], v[104:105], v[106:107]
	v_fma_f64 v[120:121], v[43:44], s[4:5], v[0:1]
	v_fma_f64 v[0:1], v[43:44], s[6:7], v[0:1]
	;; [unrolled: 1-line block ×12, first 2 shown]
	v_add_f64 v[28:29], v[37:38], v[28:29]
	v_add_f64 v[37:38], v[108:109], v[110:111]
	;; [unrolled: 1-line block ×7, first 2 shown]
	v_fma_f64 v[108:109], v[45:46], s[10:11], v[120:121]
	v_fma_f64 v[0:1], v[45:46], s[12:13], v[0:1]
	;; [unrolled: 1-line block ×12, first 2 shown]
	v_mov_b32_e32 v24, 0x3c0
	v_mov_b32_e32 v25, 3
	v_add_f64 v[35:36], v[35:36], v[68:69]
	v_add_f64 v[39:40], v[39:40], v[58:59]
                                        ; implicit-def: $vgpr132_vgpr133
	v_add_f64 v[41:42], v[41:42], v[64:65]
	v_mul_u32_u24_sdwa v47, v103, v24 dst_sel:DWORD dst_unused:UNUSED_PAD src0_sel:WORD_0 src1_sel:DWORD
	v_mul_u32_u24_sdwa v103, v102, v24 dst_sel:DWORD dst_unused:UNUSED_PAD src0_sel:WORD_0 src1_sel:DWORD
	v_add_nc_u32_e32 v102, 0x1400, v99
	v_fma_f64 v[54:55], v[30:31], s[16:17], v[108:109]
	v_fma_f64 v[30:31], v[30:31], s[16:17], v[0:1]
	;; [unrolled: 1-line block ×12, first 2 shown]
	v_lshlrev_b32_sdwa v17, v25, v18 dst_sel:DWORD dst_unused:UNUSED_PAD src0_sel:DWORD src1_sel:BYTE_0
	v_lshlrev_b32_sdwa v18, v25, v19 dst_sel:DWORD dst_unused:UNUSED_PAD src0_sel:DWORD src1_sel:BYTE_0
	v_mul_u32_u24_sdwa v16, v101, v24 dst_sel:DWORD dst_unused:UNUSED_PAD src0_sel:WORD_0 src1_sel:DWORD
	v_lshlrev_b32_sdwa v19, v25, v32 dst_sel:DWORD dst_unused:UNUSED_PAD src0_sel:DWORD src1_sel:BYTE_0
	v_add_nc_u32_e32 v101, 0xc00, v99
	v_add3_u32 v105, 0, v47, v17
	v_add3_u32 v104, 0, v103, v18
	ds_read2_b64 v[22:25], v99 offset1:56
	v_add3_u32 v103, 0, v16, v19
	s_waitcnt lgkmcnt(0)
	s_barrier
	buffer_gl0_inv
	ds_write2_b64 v105, v[35:36], v[54:55] offset1:24
	ds_write2_b64 v105, v[45:46], v[8:9] offset0:48 offset1:72
	ds_write_b64 v105, v[30:31] offset:768
	ds_write2_b64 v104, v[39:40], v[28:29] offset1:24
	ds_write2_b64 v104, v[33:34], v[10:11] offset0:48 offset1:72
	ds_write_b64 v104, v[14:15] offset:768
	;; [unrolled: 3-line block ×3, first 2 shown]
	s_waitcnt lgkmcnt(0)
	s_barrier
	buffer_gl0_inv
	ds_read2_b64 v[16:19], v99 offset1:56
	ds_read2_b64 v[32:35], v99 offset0:120 offset1:176
	ds_read2_b64 v[28:31], v97 offset0:112 offset1:168
	;; [unrolled: 1-line block ×6, first 2 shown]
                                        ; implicit-def: $vgpr10_vgpr11
                                        ; implicit-def: $vgpr14_vgpr15
	s_and_saveexec_b32 s1, s0
	s_cbranch_execz .LBB0_37
; %bb.36:
	v_add_nc_u32_e32 v8, 0x800, v99
	v_add_nc_u32_e32 v9, 0x1000, v99
	ds_read2_b64 v[0:3], v99 offset0:112 offset1:232
	ds_read2_b64 v[12:15], v8 offset0:96 offset1:216
	;; [unrolled: 1-line block ×3, first 2 shown]
	ds_read_b64 v[132:133], v99 offset:6656
.LBB0_37:
	s_or_b32 exec_lo, exec_lo, s1
	v_add_f64 v[96:97], v[84:85], v[78:79]
	v_add_f64 v[106:107], v[94:95], v[72:73]
	v_add_f64 v[108:109], v[86:87], v[80:81]
	v_add_f64 v[110:111], v[92:93], v[74:75]
	v_add_f64 v[112:113], v[90:91], v[82:83]
	v_add_f64 v[114:115], v[88:89], v[76:77]
	v_add_f64 v[116:117], v[22:23], v[94:95]
	v_add_f64 v[68:69], v[70:71], -v[68:69]
	v_add_f64 v[118:119], v[24:25], v[92:93]
	v_add_f64 v[60:61], v[60:61], -v[66:67]
	v_add_f64 v[120:121], v[20:21], v[88:89]
	v_add_f64 v[58:59], v[62:63], -v[58:59]
	v_add_f64 v[4:5], v[4:5], -v[48:49]
	;; [unrolled: 1-line block ×10, first 2 shown]
	s_waitcnt lgkmcnt(0)
	v_fma_f64 v[96:97], v[96:97], -0.5, v[22:23]
	v_fma_f64 v[22:23], v[106:107], -0.5, v[22:23]
	v_fma_f64 v[48:49], v[108:109], -0.5, v[24:25]
	v_fma_f64 v[24:25], v[110:111], -0.5, v[24:25]
	v_fma_f64 v[56:57], v[112:113], -0.5, v[20:21]
	v_fma_f64 v[20:21], v[114:115], -0.5, v[20:21]
	v_add_f64 v[84:85], v[116:117], v[84:85]
	v_add_f64 v[106:107], v[74:75], -v[80:81]
	v_add_f64 v[86:87], v[118:119], v[86:87]
	v_add_f64 v[110:111], v[88:89], -v[90:91]
	v_add_f64 v[88:89], v[90:91], -v[88:89]
	v_add_f64 v[90:91], v[120:121], v[90:91]
	v_add_f64 v[108:109], v[80:81], -v[74:75]
	v_add_f64 v[112:113], v[76:77], -v[82:83]
	;; [unrolled: 1-line block ×3, first 2 shown]
	s_barrier
	v_add_f64 v[66:67], v[66:67], v[70:71]
	buffer_gl0_inv
                                        ; implicit-def: $vgpr134_vgpr135
	v_add_f64 v[62:63], v[94:95], v[62:63]
	v_fma_f64 v[116:117], v[68:69], s[6:7], v[96:97]
	v_fma_f64 v[96:97], v[68:69], s[4:5], v[96:97]
	;; [unrolled: 1-line block ×12, first 2 shown]
	v_add_f64 v[78:79], v[84:85], v[78:79]
	v_add_f64 v[80:81], v[86:87], v[80:81]
	;; [unrolled: 1-line block ×7, first 2 shown]
	v_fma_f64 v[84:85], v[60:61], s[12:13], v[116:117]
	v_fma_f64 v[60:61], v[60:61], s[10:11], v[96:97]
	;; [unrolled: 1-line block ×12, first 2 shown]
	v_add_f64 v[50:51], v[78:79], v[72:73]
	v_add_f64 v[56:57], v[80:81], v[74:75]
	;; [unrolled: 1-line block ×3, first 2 shown]
	v_fma_f64 v[74:75], v[66:67], s[16:17], v[84:85]
	v_fma_f64 v[60:61], v[66:67], s[16:17], v[60:61]
	;; [unrolled: 1-line block ×12, first 2 shown]
	v_add_nc_u32_e32 v26, 0x400, v99
	v_add_nc_u32_e32 v20, 0x800, v99
	;; [unrolled: 1-line block ×3, first 2 shown]
	ds_write2_b64 v105, v[50:51], v[74:75] offset1:24
	ds_write2_b64 v105, v[66:67], v[22:23] offset0:48 offset1:72
	ds_write_b64 v105, v[60:61] offset:768
	ds_write2_b64 v104, v[56:57], v[62:63] offset1:24
	ds_write2_b64 v104, v[48:49], v[24:25] offset0:48 offset1:72
	ds_write_b64 v104, v[64:65] offset:768
	;; [unrolled: 3-line block ×3, first 2 shown]
	s_waitcnt lgkmcnt(0)
	s_barrier
	buffer_gl0_inv
	ds_read2_b64 v[48:51], v99 offset1:56
	ds_read2_b64 v[68:71], v99 offset0:120 offset1:176
	ds_read2_b64 v[64:67], v26 offset0:112 offset1:168
	;; [unrolled: 1-line block ×6, first 2 shown]
                                        ; implicit-def: $vgpr22_vgpr23
                                        ; implicit-def: $vgpr26_vgpr27
	s_and_saveexec_b32 s1, s0
	s_cbranch_execz .LBB0_39
; %bb.38:
	ds_read2_b64 v[4:7], v99 offset0:112 offset1:232
	ds_read2_b64 v[24:27], v20 offset0:96 offset1:216
	;; [unrolled: 1-line block ×3, first 2 shown]
	ds_read_b64 v[134:135], v99 offset:6656
.LBB0_39:
	s_or_b32 exec_lo, exec_lo, s1
	s_and_saveexec_b32 s1, vcc_lo
	s_cbranch_execz .LBB0_42
; %bb.40:
	v_mul_u32_u24_e32 v80, 6, v98
	v_mul_u32_u24_e32 v81, 6, v140
	s_mov_b32 s10, 0xe976ee23
	s_mov_b32 s12, 0x37e14327
	;; [unrolled: 1-line block ×3, first 2 shown]
	v_lshlrev_b32_e32 v84, 4, v80
	v_lshlrev_b32_e32 v100, 4, v81
	s_mov_b32 s20, 0x429ad128
	s_mov_b32 s11, 0xbfe11646
	;; [unrolled: 1-line block ×3, first 2 shown]
	s_clause 0xb
	global_load_dwordx4 v[80:83], v84, s[8:9] offset:1968
	global_load_dwordx4 v[104:107], v100, s[8:9] offset:1968
	;; [unrolled: 1-line block ×12, first 2 shown]
	s_mov_b32 s25, 0x3fac98ee
	s_mov_b32 s21, 0x3febfeb5
	v_mul_lo_u32 v142, s3, v130
	v_mad_u64_u32 v[136:137], null, s2, v130, 0
	v_mul_hi_u32 v130, 0x88888889, v140
	v_add_nc_u32_e32 v143, 56, v140
	v_mul_lo_u32 v131, s2, v131
	s_mov_b32 s6, 0xb247c609
	s_mov_b32 s4, 0xaaaaaaaa
	;; [unrolled: 1-line block ×3, first 2 shown]
	v_mul_hi_u32 v144, 0x88888889, v143
	s_mov_b32 s7, 0x3fd5d0dc
	v_lshrrev_b32_e32 v130, 6, v130
	s_mov_b32 s5, 0xbff2aaaa
	s_mov_b32 s19, 0xbfd5d0dc
	;; [unrolled: 1-line block ×6, first 2 shown]
	v_lshlrev_b64 v[138:139], 4, v[128:129]
	v_add3_u32 v137, v137, v131, v142
	v_mul_lo_u32 v128, 0x78, v130
	v_lshrrev_b32_e32 v131, 6, v144
	v_mov_b32_e32 v129, 0
	s_mov_b32 s2, 0x37c3f68c
	v_lshlrev_b64 v[136:137], 4, v[136:137]
	s_mov_b32 s3, 0x3fdc38aa
	v_mul_lo_u32 v142, 0x78, v131
	v_add_nc_u32_e32 v130, 0x70, v140
	v_sub_nc_u32_e32 v128, v140, v128
	v_add_co_u32 v136, s1, s14, v136
	v_add_co_ci_u32_e64 v137, s1, s15, v137, s1
	v_lshlrev_b32_e32 v146, 4, v128
	v_sub_nc_u32_e32 v128, v143, v142
	v_add_co_u32 v142, s1, v136, v138
	v_add_co_ci_u32_e64 v143, s1, v137, v139, s1
	v_mad_u64_u32 v[144:145], null, 0x348, v131, v[128:129]
	v_add_co_u32 v136, s1, v142, v146
	v_add_co_ci_u32_e64 v137, s1, 0, v143, s1
	v_mov_b32_e32 v145, v129
	v_add_co_u32 v138, s1, 0x800, v136
	v_add_nc_u32_e32 v128, 0x78, v144
	v_add_co_ci_u32_e64 v139, s1, 0, v137, s1
	v_add_co_u32 v146, s1, 0x1000, v136
	v_lshlrev_b64 v[156:157], 4, v[128:129]
	v_add_nc_u32_e32 v128, 0xf0, v144
	v_add_co_ci_u32_e64 v147, s1, 0, v137, s1
	v_add_co_u32 v148, s1, 0x1800, v136
	v_lshlrev_b64 v[158:159], 4, v[128:129]
	;; [unrolled: 4-line block ×3, first 2 shown]
	v_add_co_ci_u32_e64 v151, s1, 0, v137, s1
	v_add_co_u32 v154, s1, 0x2800, v136
	v_lshlrev_b64 v[160:161], 4, v[128:129]
	v_add_nc_u32_e32 v128, 0x1e0, v144
	v_add_co_ci_u32_e64 v155, s1, 0, v137, s1
	v_add_co_u32 v152, s1, v142, v152
	v_add_co_ci_u32_e64 v153, s1, v143, v153, s1
	v_lshlrev_b64 v[162:163], 4, v[128:129]
	v_add_nc_u32_e32 v128, 0x258, v144
	v_add_co_u32 v156, s1, v142, v156
	v_add_co_ci_u32_e64 v157, s1, v143, v157, s1
	v_add_co_u32 v158, s1, v142, v158
	v_add_co_ci_u32_e64 v159, s1, v143, v159, s1
	v_cmp_gt_u32_e32 vcc_lo, 0x78, v130
	s_waitcnt vmcnt(11) lgkmcnt(0)
	v_mul_f64 v[164:165], v[78:79], v[82:83]
	v_mul_f64 v[82:83], v[54:55], v[82:83]
	s_waitcnt vmcnt(10)
	v_mul_f64 v[166:167], v[76:77], v[106:107]
	v_mul_f64 v[106:107], v[52:53], v[106:107]
	s_waitcnt vmcnt(9)
	;; [unrolled: 3-line block ×5, first 2 shown]
	v_mul_f64 v[174:175], v[58:59], v[114:115]
	s_waitcnt vmcnt(5)
	v_mul_f64 v[176:177], v[62:63], v[110:111]
	v_mul_f64 v[114:115], v[38:39], v[114:115]
	;; [unrolled: 1-line block ×3, first 2 shown]
	s_waitcnt vmcnt(4)
	v_mul_f64 v[178:179], v[68:69], v[94:95]
	v_mul_f64 v[94:95], v[32:33], v[94:95]
	s_waitcnt vmcnt(1)
	v_mul_f64 v[184:185], v[40:41], v[98:99]
	s_waitcnt vmcnt(0)
	v_mul_f64 v[186:187], v[28:29], v[102:103]
	v_mul_f64 v[102:103], v[64:65], v[102:103]
	;; [unrolled: 1-line block ×7, first 2 shown]
	v_fma_f64 v[54:55], v[54:55], v[80:81], -v[164:165]
	v_fma_f64 v[78:79], v[78:79], v[80:81], v[82:83]
	v_fma_f64 v[34:35], v[34:35], v[124:125], -v[168:169]
	v_fma_f64 v[70:71], v[70:71], v[124:125], v[126:127]
	;; [unrolled: 2-line block ×3, first 2 shown]
	v_fma_f64 v[76:77], v[76:77], v[104:105], v[106:107]
	v_fma_f64 v[66:67], v[66:67], v[116:117], v[118:119]
	v_fma_f64 v[38:39], v[38:39], v[112:113], -v[174:175]
	v_fma_f64 v[46:47], v[46:47], v[108:109], -v[176:177]
	v_fma_f64 v[58:59], v[58:59], v[112:113], v[114:115]
	v_fma_f64 v[62:63], v[62:63], v[108:109], v[110:111]
	v_fma_f64 v[32:33], v[32:33], v[92:93], -v[178:179]
	v_fma_f64 v[68:69], v[68:69], v[92:93], v[94:95]
	v_fma_f64 v[72:73], v[72:73], v[96:97], v[184:185]
	;; [unrolled: 1-line block ×3, first 2 shown]
	v_fma_f64 v[28:29], v[28:29], v[100:101], -v[102:103]
	v_fma_f64 v[40:41], v[40:41], v[96:97], -v[98:99]
	;; [unrolled: 1-line block ×6, first 2 shown]
	v_fma_f64 v[56:57], v[56:57], v[88:89], v[90:91]
	v_fma_f64 v[60:61], v[60:61], v[84:85], v[86:87]
	v_add_f64 v[84:85], v[34:35], -v[54:55]
	v_add_f64 v[90:91], v[70:71], v[78:79]
	v_add_f64 v[34:35], v[34:35], v[54:55]
	v_lshlrev_b64 v[82:83], 4, v[128:129]
	v_add_nc_u32_e32 v128, 0x2d0, v144
	v_add_f64 v[92:93], v[66:67], v[74:75]
	v_add_co_u32 v80, s1, v142, v160
	v_add_f64 v[86:87], v[46:47], -v[38:39]
	v_add_f64 v[94:95], v[62:63], v[58:59]
	v_add_f64 v[38:39], v[46:47], v[38:39]
	v_add_f64 v[46:47], v[62:63], -v[58:59]
	v_add_f64 v[54:55], v[68:69], v[76:77]
	v_add_f64 v[58:59], v[64:65], v[72:73]
	v_add_f64 v[62:63], v[66:67], -v[74:75]
	v_add_f64 v[66:67], v[32:33], -v[52:53]
	v_add_f64 v[32:33], v[32:33], v[52:53]
	v_add_f64 v[52:53], v[28:29], v[40:41]
	v_add_f64 v[88:89], v[30:31], -v[42:43]
	v_add_f64 v[30:31], v[30:31], v[42:43]
	v_add_f64 v[42:43], v[70:71], -v[78:79]
	v_add_f64 v[70:71], v[44:45], -v[36:37]
	;; [unrolled: 1-line block ×3, first 2 shown]
	v_add_f64 v[40:41], v[60:61], v[56:57]
	v_add_f64 v[36:37], v[44:45], v[36:37]
	v_add_f64 v[44:45], v[68:69], -v[76:77]
	v_add_f64 v[56:57], v[60:61], -v[56:57]
	;; [unrolled: 1-line block ×3, first 2 shown]
	v_add_f64 v[74:75], v[90:91], v[92:93]
	v_add_co_ci_u32_e64 v81, s1, v143, v161, s1
	v_add_f64 v[76:77], v[90:91], -v[94:95]
	v_add_f64 v[78:79], v[94:95], -v[92:93]
	v_add_f64 v[90:91], v[92:93], -v[90:91]
	v_add_f64 v[64:65], v[84:85], -v[86:87]
	v_add_f64 v[102:103], v[54:55], v[58:59]
	v_add_f64 v[96:97], v[34:35], -v[38:39]
	v_add_f64 v[104:105], v[46:47], -v[62:63]
	v_add_f64 v[92:93], v[32:33], v[52:53]
	v_add_f64 v[68:69], v[86:87], -v[88:89]
	v_add_f64 v[72:73], v[86:87], v[88:89]
	v_add_f64 v[86:87], v[34:35], v[30:31]
	v_add_f64 v[98:99], v[38:39], -v[30:31]
	v_add_f64 v[88:89], v[88:89], -v[84:85]
	;; [unrolled: 1-line block ×5, first 2 shown]
	v_add_f64 v[34:35], v[70:71], v[28:29]
	v_add_f64 v[70:71], v[54:55], -v[40:41]
	v_add_f64 v[110:111], v[40:41], -v[58:59]
	;; [unrolled: 1-line block ×6, first 2 shown]
	v_add_f64 v[74:75], v[94:95], v[74:75]
	v_add_f64 v[122:123], v[60:61], -v[44:45]
	v_add_f64 v[40:41], v[40:41], v[102:103]
	v_add_f64 v[28:29], v[56:57], v[60:61]
	v_add_f64 v[100:101], v[42:43], -v[46:47]
	v_add_f64 v[46:47], v[46:47], v[62:63]
	v_add_f64 v[36:37], v[36:37], v[92:93]
	v_add_f64 v[62:63], v[62:63], -v[42:43]
	v_add_f64 v[116:117], v[44:45], -v[56:57]
	v_add_f64 v[38:39], v[38:39], v[86:87]
	v_add_f64 v[54:55], v[58:59], -v[54:55]
	v_add_f64 v[52:53], v[52:53], -v[32:33]
	v_mul_f64 v[56:57], v[68:69], s[10:11]
	v_add_f64 v[58:59], v[84:85], v[72:73]
	v_mul_f64 v[60:61], v[76:77], s[12:13]
	v_mul_f64 v[68:69], v[78:79], s[24:25]
	;; [unrolled: 1-line block ×7, first 2 shown]
	v_add_f64 v[66:67], v[66:67], v[34:35]
	v_mul_f64 v[94:95], v[118:119], s[10:11]
	v_mul_f64 v[98:99], v[120:121], s[20:21]
	v_add_f64 v[30:31], v[50:51], v[74:75]
	v_mul_f64 v[50:51], v[110:111], s[24:25]
	v_mul_f64 v[104:105], v[114:115], s[24:25]
	;; [unrolled: 1-line block ×3, first 2 shown]
	v_add_f64 v[34:35], v[48:49], v[40:41]
	v_add_f64 v[32:33], v[16:17], v[36:37]
	v_mul_f64 v[102:103], v[122:123], s[20:21]
	v_mul_f64 v[114:115], v[112:113], s[12:13]
	v_add_f64 v[44:45], v[44:45], v[28:29]
	v_add_f64 v[28:29], v[18:19], v[38:39]
	;; [unrolled: 1-line block ×3, first 2 shown]
	v_mul_f64 v[46:47], v[62:63], s[20:21]
	v_fma_f64 v[48:49], v[64:65], s[6:7], v[56:57]
	v_fma_f64 v[16:17], v[76:77], s[12:13], v[68:69]
	v_fma_f64 v[60:61], v[90:91], s[16:17], -v[60:61]
	v_fma_f64 v[68:69], v[90:91], s[22:23], -v[68:69]
	;; [unrolled: 1-line block ×5, first 2 shown]
	v_fma_f64 v[86:87], v[108:109], s[6:7], v[92:93]
	v_fma_f64 v[88:89], v[116:117], s[6:7], v[94:95]
	v_fma_f64 v[90:91], v[108:109], s[18:19], -v[98:99]
	v_fma_f64 v[92:93], v[120:121], s[20:21], -v[92:93]
	v_fma_f64 v[74:75], v[74:75], s[4:5], v[30:31]
	v_fma_f64 v[70:71], v[70:71], s[12:13], v[50:51]
	v_fma_f64 v[98:99], v[54:55], s[16:17], -v[110:111]
	v_fma_f64 v[40:41], v[40:41], s[4:5], v[34:35]
	v_fma_f64 v[50:51], v[54:55], s[22:23], -v[50:51]
	v_fma_f64 v[54:55], v[112:113], s[12:13], v[104:105]
	v_fma_f64 v[36:37], v[36:37], s[4:5], v[32:33]
	;; [unrolled: 1-line block ×3, first 2 shown]
	v_fma_f64 v[96:97], v[116:117], s[18:19], -v[102:103]
	v_fma_f64 v[94:95], v[122:123], s[20:21], -v[94:95]
	;; [unrolled: 1-line block ×4, first 2 shown]
	v_fma_f64 v[76:77], v[100:101], s[6:7], v[78:79]
	v_fma_f64 v[38:39], v[38:39], s[4:5], v[28:29]
	v_fma_f64 v[46:47], v[100:101], s[18:19], -v[46:47]
	v_fma_f64 v[72:73], v[106:107], s[22:23], -v[72:73]
	v_fma_f64 v[62:63], v[62:63], s[20:21], -v[78:79]
	v_fma_f64 v[48:49], v[58:59], s[2:3], v[48:49]
	v_fma_f64 v[64:65], v[58:59], s[2:3], v[64:65]
	;; [unrolled: 1-line block ×7, first 2 shown]
	v_add_f64 v[58:59], v[60:61], v[74:75]
	v_add_f64 v[60:61], v[68:69], v[74:75]
	;; [unrolled: 1-line block ×6, first 2 shown]
	v_fma_f64 v[90:91], v[44:45], s[2:3], v[96:97]
	v_fma_f64 v[44:45], v[44:45], s[2:3], v[94:95]
	v_add_f64 v[94:95], v[102:103], v[36:37]
	v_add_f64 v[36:37], v[52:53], v[36:37]
	;; [unrolled: 1-line block ×3, first 2 shown]
	v_fma_f64 v[98:99], v[42:43], s[2:3], v[76:77]
	v_add_f64 v[104:105], v[18:19], v[38:39]
	v_fma_f64 v[100:101], v[42:43], s[2:3], v[46:47]
	v_add_f64 v[84:85], v[84:85], v[38:39]
	;; [unrolled: 2-line block ×3, first 2 shown]
	v_add_co_u32 v96, s1, v142, v162
	v_lshlrev_b64 v[108:109], 4, v[128:129]
	v_add_co_ci_u32_e64 v97, s1, v143, v163, s1
	v_add_f64 v[38:39], v[64:65], v[58:59]
	v_add_f64 v[50:51], v[58:59], -v[64:65]
	v_add_f64 v[74:75], v[68:69], -v[78:79]
	v_add_f64 v[54:55], v[78:79], v[68:69]
	v_add_f64 v[72:73], v[86:87], v[92:93]
	;; [unrolled: 1-line block ×3, first 2 shown]
	v_add_f64 v[70:71], v[70:71], -v[88:89]
	v_add_f64 v[62:63], v[40:41], -v[66:67]
	v_add_f64 v[68:69], v[90:91], v[94:95]
	v_add_f64 v[66:67], v[66:67], v[40:41]
	v_add_f64 v[64:65], v[36:37], -v[44:45]
	v_add_f64 v[42:43], v[60:61], -v[56:57]
	v_add_f64 v[46:47], v[56:57], v[60:61]
	v_add_f64 v[60:61], v[44:45], v[36:37]
	v_add_f64 v[56:57], v[94:95], -v[90:91]
	v_add_f64 v[52:53], v[92:93], -v[86:87]
	;; [unrolled: 1-line block ×3, first 2 shown]
	v_add_f64 v[76:77], v[98:99], v[104:105]
	v_add_f64 v[18:19], v[48:49], v[16:17]
	;; [unrolled: 1-line block ×3, first 2 shown]
	v_add_f64 v[44:45], v[106:107], -v[102:103]
	v_add_f64 v[40:41], v[102:103], v[106:107]
	v_add_f64 v[36:37], v[84:85], -v[100:101]
	v_add_f64 v[16:17], v[104:105], -v[98:99]
	v_add_co_u32 v82, s1, v142, v82
	v_add_co_ci_u32_e64 v83, s1, v143, v83, s1
	v_add_co_u32 v84, s1, v142, v108
	v_add_co_ci_u32_e64 v85, s1, v143, v109, s1
	global_store_dwordx4 v[136:137], v[32:35], off
	global_store_dwordx4 v[136:137], v[72:75], off offset:1920
	global_store_dwordx4 v[138:139], v[68:71], off offset:1792
	;; [unrolled: 1-line block ×6, first 2 shown]
	global_store_dwordx4 v[152:153], v[28:31], off
	global_store_dwordx4 v[156:157], v[76:79], off
	;; [unrolled: 1-line block ×7, first 2 shown]
	s_and_b32 exec_lo, exec_lo, vcc_lo
	s_cbranch_execz .LBB0_42
; %bb.41:
	v_add_nc_u32_e32 v16, -8, v140
	v_mov_b32_e32 v131, v129
	v_cndmask_b32_e64 v16, v16, v141, s0
	v_mul_i32_i24_e32 v128, 6, v16
	v_lshlrev_b64 v[16:17], 4, v[128:129]
	v_add_nc_u32_e32 v128, 0xe8, v140
	v_add_co_u32 v44, vcc_lo, s8, v16
	v_add_co_ci_u32_e32 v45, vcc_lo, s9, v17, vcc_lo
	s_clause 0x5
	global_load_dwordx4 v[16:19], v[44:45], off offset:1888
	global_load_dwordx4 v[28:31], v[44:45], off offset:1904
	;; [unrolled: 1-line block ×6, first 2 shown]
	s_waitcnt vmcnt(5)
	v_mul_f64 v[48:49], v[6:7], v[18:19]
	v_mul_f64 v[18:19], v[2:3], v[18:19]
	s_waitcnt vmcnt(4)
	v_mul_f64 v[50:51], v[24:25], v[30:31]
	v_mul_f64 v[30:31], v[12:13], v[30:31]
	;; [unrolled: 3-line block ×6, first 2 shown]
	v_fma_f64 v[2:3], v[2:3], v[16:17], -v[48:49]
	v_fma_f64 v[6:7], v[6:7], v[16:17], v[18:19]
	v_fma_f64 v[12:13], v[12:13], v[28:29], -v[50:51]
	v_fma_f64 v[16:17], v[24:25], v[28:29], v[30:31]
	;; [unrolled: 2-line block ×6, first 2 shown]
	v_add_f64 v[28:29], v[2:3], v[18:19]
	v_add_f64 v[30:31], v[6:7], v[24:25]
	;; [unrolled: 1-line block ×4, first 2 shown]
	v_add_f64 v[10:11], v[12:13], -v[10:11]
	v_add_f64 v[12:13], v[16:17], -v[22:23]
	v_add_f64 v[16:17], v[14:15], v[8:9]
	v_add_f64 v[22:23], v[26:27], v[20:21]
	v_add_f64 v[8:9], v[8:9], -v[14:15]
	v_add_f64 v[14:15], v[20:21], -v[26:27]
	;; [unrolled: 1-line block ×4, first 2 shown]
	v_add_f64 v[2:3], v[32:33], v[28:29]
	v_add_f64 v[20:21], v[34:35], v[30:31]
	v_add_f64 v[24:25], v[28:29], -v[16:17]
	v_add_f64 v[26:27], v[30:31], -v[22:23]
	;; [unrolled: 1-line block ×6, first 2 shown]
	v_add_f64 v[10:11], v[8:9], v[10:11]
	v_add_f64 v[12:13], v[14:15], v[12:13]
	v_add_f64 v[8:9], v[18:19], -v[8:9]
	v_add_f64 v[14:15], v[6:7], -v[14:15]
	v_add_f64 v[44:45], v[16:17], v[2:3]
	v_add_f64 v[20:21], v[22:23], v[20:21]
	v_add_f64 v[16:17], v[16:17], -v[32:33]
	v_add_f64 v[22:23], v[22:23], -v[34:35]
	v_mul_f64 v[24:25], v[24:25], s[12:13]
	v_mul_f64 v[26:27], v[26:27], s[12:13]
	;; [unrolled: 1-line block ×6, first 2 shown]
	v_add_f64 v[10:11], v[10:11], v[18:19]
	v_add_f64 v[6:7], v[12:13], v[6:7]
	;; [unrolled: 1-line block ×4, first 2 shown]
	v_add_f64 v[4:5], v[32:33], -v[28:29]
	v_add_f64 v[28:29], v[34:35], -v[30:31]
	v_mul_f64 v[30:31], v[16:17], s[24:25]
	v_mul_f64 v[32:33], v[22:23], s[24:25]
	v_fma_f64 v[12:13], v[16:17], s[24:25], v[24:25]
	v_fma_f64 v[16:17], v[22:23], s[24:25], v[26:27]
	;; [unrolled: 1-line block ×4, first 2 shown]
	v_fma_f64 v[36:37], v[40:41], s[20:21], -v[36:37]
	v_fma_f64 v[38:39], v[42:43], s[20:21], -v[38:39]
	;; [unrolled: 1-line block ×4, first 2 shown]
	v_lshlrev_b64 v[34:35], 4, v[130:131]
	v_fma_f64 v[40:41], v[44:45], s[4:5], v[0:1]
	v_fma_f64 v[20:21], v[20:21], s[4:5], v[2:3]
	v_fma_f64 v[24:25], v[4:5], s[16:17], -v[24:25]
	v_fma_f64 v[26:27], v[28:29], s[16:17], -v[26:27]
	;; [unrolled: 1-line block ×4, first 2 shown]
	v_lshlrev_b64 v[30:31], 4, v[128:129]
	v_add_nc_u32_e32 v128, 0x160, v140
	v_fma_f64 v[42:43], v[10:11], s[2:3], v[18:19]
	v_fma_f64 v[44:45], v[6:7], s[2:3], v[22:23]
	;; [unrolled: 1-line block ×6, first 2 shown]
	v_add_co_u32 v32, vcc_lo, v142, v34
	v_add_co_ci_u32_e32 v33, vcc_lo, v143, v35, vcc_lo
	v_lshlrev_b64 v[34:35], 4, v[128:129]
	v_add_nc_u32_e32 v128, 0x1d8, v140
	v_add_f64 v[46:47], v[12:13], v[40:41]
	v_add_f64 v[48:49], v[16:17], v[20:21]
	;; [unrolled: 1-line block ×6, first 2 shown]
	v_add_co_u32 v28, vcc_lo, v142, v30
	v_lshlrev_b64 v[4:5], 4, v[128:129]
	v_add_co_ci_u32_e32 v29, vcc_lo, v143, v31, vcc_lo
	v_add_co_u32 v30, vcc_lo, v142, v34
	v_add_co_ci_u32_e32 v31, vcc_lo, v143, v35, vcc_lo
	v_add_nc_u32_e32 v128, 0x250, v140
	v_add_co_u32 v40, vcc_lo, v142, v4
	v_add_co_ci_u32_e32 v41, vcc_lo, v143, v5, vcc_lo
	v_lshlrev_b64 v[34:35], 4, v[128:129]
	v_add_nc_u32_e32 v128, 0x2c8, v140
	v_add_f64 v[4:5], v[44:45], v[46:47]
	v_add_f64 v[6:7], v[48:49], -v[42:43]
	v_add_f64 v[8:9], v[38:39], v[24:25]
	v_add_f64 v[10:11], v[26:27], -v[36:37]
	v_add_f64 v[12:13], v[16:17], -v[22:23]
	v_add_f64 v[14:15], v[18:19], v[20:21]
	v_add_f64 v[16:17], v[22:23], v[16:17]
	v_add_f64 v[18:19], v[20:21], -v[18:19]
	v_add_f64 v[20:21], v[24:25], -v[38:39]
	v_add_f64 v[22:23], v[36:37], v[26:27]
	v_add_f64 v[24:25], v[46:47], -v[44:45]
	v_add_f64 v[26:27], v[42:43], v[48:49]
	v_lshlrev_b64 v[36:37], 4, v[128:129]
	v_add_nc_u32_e32 v128, 0x340, v140
	v_add_co_u32 v34, vcc_lo, v142, v34
	v_add_co_ci_u32_e32 v35, vcc_lo, v143, v35, vcc_lo
	v_lshlrev_b64 v[38:39], 4, v[128:129]
	v_add_co_u32 v36, vcc_lo, v142, v36
	v_add_co_ci_u32_e32 v37, vcc_lo, v143, v37, vcc_lo
	v_add_co_u32 v38, vcc_lo, v142, v38
	v_add_co_ci_u32_e32 v39, vcc_lo, v143, v39, vcc_lo
	global_store_dwordx4 v[32:33], v[0:3], off
	global_store_dwordx4 v[28:29], v[4:7], off
	;; [unrolled: 1-line block ×7, first 2 shown]
.LBB0_42:
	s_endpgm
	.section	.rodata,"a",@progbits
	.p2align	6, 0x0
	.amdhsa_kernel fft_rtc_fwd_len840_factors_2_2_2_3_5_7_wgs_56_tpt_56_halfLds_dp_op_CI_CI_unitstride_sbrr_dirReg
		.amdhsa_group_segment_fixed_size 0
		.amdhsa_private_segment_fixed_size 0
		.amdhsa_kernarg_size 104
		.amdhsa_user_sgpr_count 6
		.amdhsa_user_sgpr_private_segment_buffer 1
		.amdhsa_user_sgpr_dispatch_ptr 0
		.amdhsa_user_sgpr_queue_ptr 0
		.amdhsa_user_sgpr_kernarg_segment_ptr 1
		.amdhsa_user_sgpr_dispatch_id 0
		.amdhsa_user_sgpr_flat_scratch_init 0
		.amdhsa_user_sgpr_private_segment_size 0
		.amdhsa_wavefront_size32 1
		.amdhsa_uses_dynamic_stack 0
		.amdhsa_system_sgpr_private_segment_wavefront_offset 0
		.amdhsa_system_sgpr_workgroup_id_x 1
		.amdhsa_system_sgpr_workgroup_id_y 0
		.amdhsa_system_sgpr_workgroup_id_z 0
		.amdhsa_system_sgpr_workgroup_info 0
		.amdhsa_system_vgpr_workitem_id 0
		.amdhsa_next_free_vgpr 188
		.amdhsa_next_free_sgpr 27
		.amdhsa_reserve_vcc 1
		.amdhsa_reserve_flat_scratch 0
		.amdhsa_float_round_mode_32 0
		.amdhsa_float_round_mode_16_64 0
		.amdhsa_float_denorm_mode_32 3
		.amdhsa_float_denorm_mode_16_64 3
		.amdhsa_dx10_clamp 1
		.amdhsa_ieee_mode 1
		.amdhsa_fp16_overflow 0
		.amdhsa_workgroup_processor_mode 1
		.amdhsa_memory_ordered 1
		.amdhsa_forward_progress 0
		.amdhsa_shared_vgpr_count 0
		.amdhsa_exception_fp_ieee_invalid_op 0
		.amdhsa_exception_fp_denorm_src 0
		.amdhsa_exception_fp_ieee_div_zero 0
		.amdhsa_exception_fp_ieee_overflow 0
		.amdhsa_exception_fp_ieee_underflow 0
		.amdhsa_exception_fp_ieee_inexact 0
		.amdhsa_exception_int_div_zero 0
	.end_amdhsa_kernel
	.text
.Lfunc_end0:
	.size	fft_rtc_fwd_len840_factors_2_2_2_3_5_7_wgs_56_tpt_56_halfLds_dp_op_CI_CI_unitstride_sbrr_dirReg, .Lfunc_end0-fft_rtc_fwd_len840_factors_2_2_2_3_5_7_wgs_56_tpt_56_halfLds_dp_op_CI_CI_unitstride_sbrr_dirReg
                                        ; -- End function
	.section	.AMDGPU.csdata,"",@progbits
; Kernel info:
; codeLenInByte = 12552
; NumSgprs: 29
; NumVgprs: 188
; ScratchSize: 0
; MemoryBound: 1
; FloatMode: 240
; IeeeMode: 1
; LDSByteSize: 0 bytes/workgroup (compile time only)
; SGPRBlocks: 3
; VGPRBlocks: 23
; NumSGPRsForWavesPerEU: 29
; NumVGPRsForWavesPerEU: 188
; Occupancy: 5
; WaveLimiterHint : 1
; COMPUTE_PGM_RSRC2:SCRATCH_EN: 0
; COMPUTE_PGM_RSRC2:USER_SGPR: 6
; COMPUTE_PGM_RSRC2:TRAP_HANDLER: 0
; COMPUTE_PGM_RSRC2:TGID_X_EN: 1
; COMPUTE_PGM_RSRC2:TGID_Y_EN: 0
; COMPUTE_PGM_RSRC2:TGID_Z_EN: 0
; COMPUTE_PGM_RSRC2:TIDIG_COMP_CNT: 0
	.text
	.p2alignl 6, 3214868480
	.fill 48, 4, 3214868480
	.type	__hip_cuid_3881cca09a273fd6,@object ; @__hip_cuid_3881cca09a273fd6
	.section	.bss,"aw",@nobits
	.globl	__hip_cuid_3881cca09a273fd6
__hip_cuid_3881cca09a273fd6:
	.byte	0                               ; 0x0
	.size	__hip_cuid_3881cca09a273fd6, 1

	.ident	"AMD clang version 19.0.0git (https://github.com/RadeonOpenCompute/llvm-project roc-6.4.0 25133 c7fe45cf4b819c5991fe208aaa96edf142730f1d)"
	.section	".note.GNU-stack","",@progbits
	.addrsig
	.addrsig_sym __hip_cuid_3881cca09a273fd6
	.amdgpu_metadata
---
amdhsa.kernels:
  - .args:
      - .actual_access:  read_only
        .address_space:  global
        .offset:         0
        .size:           8
        .value_kind:     global_buffer
      - .offset:         8
        .size:           8
        .value_kind:     by_value
      - .actual_access:  read_only
        .address_space:  global
        .offset:         16
        .size:           8
        .value_kind:     global_buffer
      - .actual_access:  read_only
        .address_space:  global
        .offset:         24
        .size:           8
        .value_kind:     global_buffer
      - .actual_access:  read_only
        .address_space:  global
        .offset:         32
        .size:           8
        .value_kind:     global_buffer
      - .offset:         40
        .size:           8
        .value_kind:     by_value
      - .actual_access:  read_only
        .address_space:  global
        .offset:         48
        .size:           8
        .value_kind:     global_buffer
      - .actual_access:  read_only
        .address_space:  global
        .offset:         56
        .size:           8
        .value_kind:     global_buffer
      - .offset:         64
        .size:           4
        .value_kind:     by_value
      - .actual_access:  read_only
        .address_space:  global
        .offset:         72
        .size:           8
        .value_kind:     global_buffer
      - .actual_access:  read_only
        .address_space:  global
        .offset:         80
        .size:           8
        .value_kind:     global_buffer
      - .actual_access:  read_only
        .address_space:  global
        .offset:         88
        .size:           8
        .value_kind:     global_buffer
      - .actual_access:  write_only
        .address_space:  global
        .offset:         96
        .size:           8
        .value_kind:     global_buffer
    .group_segment_fixed_size: 0
    .kernarg_segment_align: 8
    .kernarg_segment_size: 104
    .language:       OpenCL C
    .language_version:
      - 2
      - 0
    .max_flat_workgroup_size: 56
    .name:           fft_rtc_fwd_len840_factors_2_2_2_3_5_7_wgs_56_tpt_56_halfLds_dp_op_CI_CI_unitstride_sbrr_dirReg
    .private_segment_fixed_size: 0
    .sgpr_count:     29
    .sgpr_spill_count: 0
    .symbol:         fft_rtc_fwd_len840_factors_2_2_2_3_5_7_wgs_56_tpt_56_halfLds_dp_op_CI_CI_unitstride_sbrr_dirReg.kd
    .uniform_work_group_size: 1
    .uses_dynamic_stack: false
    .vgpr_count:     188
    .vgpr_spill_count: 0
    .wavefront_size: 32
    .workgroup_processor_mode: 1
amdhsa.target:   amdgcn-amd-amdhsa--gfx1030
amdhsa.version:
  - 1
  - 2
...

	.end_amdgpu_metadata
